;; amdgpu-corpus repo=ROCm/rocFFT kind=compiled arch=gfx906 opt=O3
	.text
	.amdgcn_target "amdgcn-amd-amdhsa--gfx906"
	.amdhsa_code_object_version 6
	.protected	fft_rtc_fwd_len1500_factors_5_10_10_3_wgs_150_tpt_150_halfLds_half_ip_CI_unitstride_sbrr_R2C_dirReg ; -- Begin function fft_rtc_fwd_len1500_factors_5_10_10_3_wgs_150_tpt_150_halfLds_half_ip_CI_unitstride_sbrr_R2C_dirReg
	.globl	fft_rtc_fwd_len1500_factors_5_10_10_3_wgs_150_tpt_150_halfLds_half_ip_CI_unitstride_sbrr_R2C_dirReg
	.p2align	8
	.type	fft_rtc_fwd_len1500_factors_5_10_10_3_wgs_150_tpt_150_halfLds_half_ip_CI_unitstride_sbrr_R2C_dirReg,@function
fft_rtc_fwd_len1500_factors_5_10_10_3_wgs_150_tpt_150_halfLds_half_ip_CI_unitstride_sbrr_R2C_dirReg: ; @fft_rtc_fwd_len1500_factors_5_10_10_3_wgs_150_tpt_150_halfLds_half_ip_CI_unitstride_sbrr_R2C_dirReg
; %bb.0:
	s_load_dwordx2 s[12:13], s[4:5], 0x50
	s_load_dwordx4 s[8:11], s[4:5], 0x0
	s_load_dwordx2 s[2:3], s[4:5], 0x18
	v_mul_u32_u24_e32 v1, 0x1b5, v0
	v_add_u32_sdwa v5, s6, v1 dst_sel:DWORD dst_unused:UNUSED_PAD src0_sel:DWORD src1_sel:WORD_1
	v_mov_b32_e32 v3, 0
	s_waitcnt lgkmcnt(0)
	v_cmp_lt_u64_e64 s[0:1], s[10:11], 2
	v_mov_b32_e32 v1, 0
	v_mov_b32_e32 v6, v3
	s_and_b64 vcc, exec, s[0:1]
	v_mov_b32_e32 v2, 0
	s_cbranch_vccnz .LBB0_8
; %bb.1:
	s_load_dwordx2 s[0:1], s[4:5], 0x10
	s_add_u32 s6, s2, 8
	s_addc_u32 s7, s3, 0
	v_mov_b32_e32 v1, 0
	v_mov_b32_e32 v2, 0
	s_waitcnt lgkmcnt(0)
	s_add_u32 s14, s0, 8
	s_addc_u32 s15, s1, 0
	s_mov_b64 s[16:17], 1
.LBB0_2:                                ; =>This Inner Loop Header: Depth=1
	s_load_dwordx2 s[18:19], s[14:15], 0x0
                                        ; implicit-def: $vgpr7_vgpr8
	s_waitcnt lgkmcnt(0)
	v_or_b32_e32 v4, s19, v6
	v_cmp_ne_u64_e32 vcc, 0, v[3:4]
	s_and_saveexec_b64 s[0:1], vcc
	s_xor_b64 s[20:21], exec, s[0:1]
	s_cbranch_execz .LBB0_4
; %bb.3:                                ;   in Loop: Header=BB0_2 Depth=1
	v_cvt_f32_u32_e32 v4, s18
	v_cvt_f32_u32_e32 v7, s19
	s_sub_u32 s0, 0, s18
	s_subb_u32 s1, 0, s19
	v_mac_f32_e32 v4, 0x4f800000, v7
	v_rcp_f32_e32 v4, v4
	v_mul_f32_e32 v4, 0x5f7ffffc, v4
	v_mul_f32_e32 v7, 0x2f800000, v4
	v_trunc_f32_e32 v7, v7
	v_mac_f32_e32 v4, 0xcf800000, v7
	v_cvt_u32_f32_e32 v7, v7
	v_cvt_u32_f32_e32 v4, v4
	v_mul_lo_u32 v8, s0, v7
	v_mul_hi_u32 v9, s0, v4
	v_mul_lo_u32 v11, s1, v4
	v_mul_lo_u32 v10, s0, v4
	v_add_u32_e32 v8, v9, v8
	v_add_u32_e32 v8, v8, v11
	v_mul_hi_u32 v9, v4, v10
	v_mul_lo_u32 v11, v4, v8
	v_mul_hi_u32 v13, v4, v8
	v_mul_hi_u32 v12, v7, v10
	v_mul_lo_u32 v10, v7, v10
	v_mul_hi_u32 v14, v7, v8
	v_add_co_u32_e32 v9, vcc, v9, v11
	v_addc_co_u32_e32 v11, vcc, 0, v13, vcc
	v_mul_lo_u32 v8, v7, v8
	v_add_co_u32_e32 v9, vcc, v9, v10
	v_addc_co_u32_e32 v9, vcc, v11, v12, vcc
	v_addc_co_u32_e32 v10, vcc, 0, v14, vcc
	v_add_co_u32_e32 v8, vcc, v9, v8
	v_addc_co_u32_e32 v9, vcc, 0, v10, vcc
	v_add_co_u32_e32 v4, vcc, v4, v8
	v_addc_co_u32_e32 v7, vcc, v7, v9, vcc
	v_mul_lo_u32 v8, s0, v7
	v_mul_hi_u32 v9, s0, v4
	v_mul_lo_u32 v10, s1, v4
	v_mul_lo_u32 v11, s0, v4
	v_add_u32_e32 v8, v9, v8
	v_add_u32_e32 v8, v8, v10
	v_mul_lo_u32 v12, v4, v8
	v_mul_hi_u32 v13, v4, v11
	v_mul_hi_u32 v14, v4, v8
	;; [unrolled: 1-line block ×3, first 2 shown]
	v_mul_lo_u32 v11, v7, v11
	v_mul_hi_u32 v9, v7, v8
	v_add_co_u32_e32 v12, vcc, v13, v12
	v_addc_co_u32_e32 v13, vcc, 0, v14, vcc
	v_mul_lo_u32 v8, v7, v8
	v_add_co_u32_e32 v11, vcc, v12, v11
	v_addc_co_u32_e32 v10, vcc, v13, v10, vcc
	v_addc_co_u32_e32 v9, vcc, 0, v9, vcc
	v_add_co_u32_e32 v8, vcc, v10, v8
	v_addc_co_u32_e32 v9, vcc, 0, v9, vcc
	v_add_co_u32_e32 v4, vcc, v4, v8
	v_addc_co_u32_e32 v9, vcc, v7, v9, vcc
	v_mad_u64_u32 v[7:8], s[0:1], v5, v9, 0
	v_mul_hi_u32 v10, v5, v4
	v_add_co_u32_e32 v11, vcc, v10, v7
	v_addc_co_u32_e32 v12, vcc, 0, v8, vcc
	v_mad_u64_u32 v[7:8], s[0:1], v6, v4, 0
	v_mad_u64_u32 v[9:10], s[0:1], v6, v9, 0
	v_add_co_u32_e32 v4, vcc, v11, v7
	v_addc_co_u32_e32 v4, vcc, v12, v8, vcc
	v_addc_co_u32_e32 v7, vcc, 0, v10, vcc
	v_add_co_u32_e32 v4, vcc, v4, v9
	v_addc_co_u32_e32 v9, vcc, 0, v7, vcc
	v_mul_lo_u32 v10, s19, v4
	v_mul_lo_u32 v11, s18, v9
	v_mad_u64_u32 v[7:8], s[0:1], s18, v4, 0
	v_add3_u32 v8, v8, v11, v10
	v_sub_u32_e32 v10, v6, v8
	v_mov_b32_e32 v11, s19
	v_sub_co_u32_e32 v7, vcc, v5, v7
	v_subb_co_u32_e64 v10, s[0:1], v10, v11, vcc
	v_subrev_co_u32_e64 v11, s[0:1], s18, v7
	v_subbrev_co_u32_e64 v10, s[0:1], 0, v10, s[0:1]
	v_cmp_le_u32_e64 s[0:1], s19, v10
	v_cndmask_b32_e64 v12, 0, -1, s[0:1]
	v_cmp_le_u32_e64 s[0:1], s18, v11
	v_cndmask_b32_e64 v11, 0, -1, s[0:1]
	v_cmp_eq_u32_e64 s[0:1], s19, v10
	v_cndmask_b32_e64 v10, v12, v11, s[0:1]
	v_add_co_u32_e64 v11, s[0:1], 2, v4
	v_addc_co_u32_e64 v12, s[0:1], 0, v9, s[0:1]
	v_add_co_u32_e64 v13, s[0:1], 1, v4
	v_addc_co_u32_e64 v14, s[0:1], 0, v9, s[0:1]
	v_subb_co_u32_e32 v8, vcc, v6, v8, vcc
	v_cmp_ne_u32_e64 s[0:1], 0, v10
	v_cmp_le_u32_e32 vcc, s19, v8
	v_cndmask_b32_e64 v10, v14, v12, s[0:1]
	v_cndmask_b32_e64 v12, 0, -1, vcc
	v_cmp_le_u32_e32 vcc, s18, v7
	v_cndmask_b32_e64 v7, 0, -1, vcc
	v_cmp_eq_u32_e32 vcc, s19, v8
	v_cndmask_b32_e32 v7, v12, v7, vcc
	v_cmp_ne_u32_e32 vcc, 0, v7
	v_cndmask_b32_e64 v7, v13, v11, s[0:1]
	v_cndmask_b32_e32 v8, v9, v10, vcc
	v_cndmask_b32_e32 v7, v4, v7, vcc
.LBB0_4:                                ;   in Loop: Header=BB0_2 Depth=1
	s_andn2_saveexec_b64 s[0:1], s[20:21]
	s_cbranch_execz .LBB0_6
; %bb.5:                                ;   in Loop: Header=BB0_2 Depth=1
	v_cvt_f32_u32_e32 v4, s18
	s_sub_i32 s20, 0, s18
	v_rcp_iflag_f32_e32 v4, v4
	v_mul_f32_e32 v4, 0x4f7ffffe, v4
	v_cvt_u32_f32_e32 v4, v4
	v_mul_lo_u32 v7, s20, v4
	v_mul_hi_u32 v7, v4, v7
	v_add_u32_e32 v4, v4, v7
	v_mul_hi_u32 v4, v5, v4
	v_mul_lo_u32 v7, v4, s18
	v_add_u32_e32 v8, 1, v4
	v_sub_u32_e32 v7, v5, v7
	v_subrev_u32_e32 v9, s18, v7
	v_cmp_le_u32_e32 vcc, s18, v7
	v_cndmask_b32_e32 v7, v7, v9, vcc
	v_cndmask_b32_e32 v4, v4, v8, vcc
	v_add_u32_e32 v8, 1, v4
	v_cmp_le_u32_e32 vcc, s18, v7
	v_cndmask_b32_e32 v7, v4, v8, vcc
	v_mov_b32_e32 v8, v3
.LBB0_6:                                ;   in Loop: Header=BB0_2 Depth=1
	s_or_b64 exec, exec, s[0:1]
	v_mul_lo_u32 v4, v8, s18
	v_mul_lo_u32 v11, v7, s19
	v_mad_u64_u32 v[9:10], s[0:1], v7, s18, 0
	s_load_dwordx2 s[0:1], s[6:7], 0x0
	s_add_u32 s16, s16, 1
	v_add3_u32 v4, v10, v11, v4
	v_sub_co_u32_e32 v5, vcc, v5, v9
	v_subb_co_u32_e32 v4, vcc, v6, v4, vcc
	s_waitcnt lgkmcnt(0)
	v_mul_lo_u32 v4, s0, v4
	v_mul_lo_u32 v6, s1, v5
	v_mad_u64_u32 v[1:2], s[0:1], s0, v5, v[1:2]
	s_addc_u32 s17, s17, 0
	s_add_u32 s6, s6, 8
	v_add3_u32 v2, v6, v2, v4
	v_mov_b32_e32 v4, s10
	v_mov_b32_e32 v5, s11
	s_addc_u32 s7, s7, 0
	v_cmp_ge_u64_e32 vcc, s[16:17], v[4:5]
	s_add_u32 s14, s14, 8
	s_addc_u32 s15, s15, 0
	s_cbranch_vccnz .LBB0_9
; %bb.7:                                ;   in Loop: Header=BB0_2 Depth=1
	v_mov_b32_e32 v5, v7
	v_mov_b32_e32 v6, v8
	s_branch .LBB0_2
.LBB0_8:
	v_mov_b32_e32 v8, v6
	v_mov_b32_e32 v7, v5
.LBB0_9:
	s_lshl_b64 s[0:1], s[10:11], 3
	s_add_u32 s0, s2, s0
	s_addc_u32 s1, s3, s1
	s_load_dwordx2 s[2:3], s[0:1], 0x0
	s_load_dwordx2 s[6:7], s[4:5], 0x20
                                        ; implicit-def: $vgpr6
	s_waitcnt lgkmcnt(0)
	v_mad_u64_u32 v[1:2], s[0:1], s2, v7, v[1:2]
	s_mov_b32 s0, 0x1b4e81c
	v_mul_lo_u32 v3, s2, v8
	v_mul_lo_u32 v4, s3, v7
	v_mul_hi_u32 v5, v0, s0
	v_cmp_gt_u64_e64 s[0:1], s[6:7], v[7:8]
	v_cmp_le_u64_e32 vcc, s[6:7], v[7:8]
	v_add3_u32 v2, v4, v2, v3
	v_mul_u32_u24_e32 v3, 0x96, v5
	v_sub_u32_e32 v0, v0, v3
                                        ; implicit-def: $vgpr4
                                        ; implicit-def: $vgpr7
	s_and_saveexec_b64 s[2:3], vcc
	s_xor_b64 s[2:3], exec, s[2:3]
; %bb.10:
	v_add_u32_e32 v4, 0x96, v0
	v_add_u32_e32 v7, 0x12c, v0
	;; [unrolled: 1-line block ×3, first 2 shown]
; %bb.11:
	s_or_saveexec_b64 s[2:3], s[2:3]
	v_lshlrev_b64 v[2:3], 2, v[1:2]
	v_lshl_add_u32 v16, v0, 2, 0
	s_xor_b64 exec, exec, s[2:3]
	s_cbranch_execz .LBB0_13
; %bb.12:
	v_mov_b32_e32 v1, 0
	v_mov_b32_e32 v4, s13
	v_add_co_u32_e32 v6, vcc, s12, v2
	v_addc_co_u32_e32 v7, vcc, v4, v3, vcc
	v_lshlrev_b64 v[4:5], 2, v[0:1]
	v_add_u32_e32 v18, 0x800, v16
	v_add_co_u32_e32 v4, vcc, v6, v4
	v_addc_co_u32_e32 v5, vcc, v7, v5, vcc
	v_add_co_u32_e32 v6, vcc, 0x1000, v4
	v_addc_co_u32_e32 v7, vcc, 0, v5, vcc
	global_load_dword v1, v[4:5], off
	global_load_dword v8, v[4:5], off offset:600
	global_load_dword v9, v[4:5], off offset:1200
	;; [unrolled: 1-line block ×9, first 2 shown]
	v_add_u32_e32 v4, 0x96, v0
	v_add_u32_e32 v7, 0x12c, v0
	;; [unrolled: 1-line block ×6, first 2 shown]
	s_waitcnt vmcnt(6)
	ds_write2_b32 v5, v9, v10 offset0:44 offset1:194
	ds_write2_b32 v16, v1, v8 offset1:150
	s_waitcnt vmcnt(4)
	ds_write2_b32 v18, v11, v12 offset0:88 offset1:238
	s_waitcnt vmcnt(2)
	ds_write2_b32 v19, v13, v14 offset0:4 offset1:154
	;; [unrolled: 2-line block ×3, first 2 shown]
.LBB0_13:
	s_or_b64 exec, exec, s[2:3]
	v_add_u32_e32 v1, 0x400, v16
	v_add_u32_e32 v9, 0x800, v16
	;; [unrolled: 1-line block ×4, first 2 shown]
	s_waitcnt lgkmcnt(0)
	s_barrier
	ds_read2_b32 v[14:15], v1 offset0:44 offset1:194
	ds_read2_b32 v[17:18], v9 offset0:88 offset1:238
	;; [unrolled: 1-line block ×4, first 2 shown]
	ds_read2_b32 v[12:13], v16 offset1:150
	s_movk_i32 s3, 0x3b9c
	s_movk_i32 s4, 0x38b4
	s_waitcnt lgkmcnt(2)
	v_pk_add_f16 v24, v17, v19
	s_waitcnt lgkmcnt(1)
	v_pk_add_f16 v25, v14, v21 neg_lo:[0,1] neg_hi:[0,1]
	s_waitcnt lgkmcnt(0)
	v_pk_fma_f16 v24, v24, 0.5, v12 op_sel_hi:[1,0,1] neg_lo:[1,0,0] neg_hi:[1,0,0]
	v_pk_mul_f16 v26, v25, s3 op_sel_hi:[1,0]
	v_pk_add_f16 v27, v17, v19 neg_lo:[0,1] neg_hi:[0,1]
	v_pk_add_f16 v29, v14, v17 neg_lo:[0,1] neg_hi:[0,1]
	;; [unrolled: 1-line block ×3, first 2 shown]
	v_pk_add_f16 v23, v12, v14
	v_pk_mul_f16 v28, v27, s4 op_sel_hi:[1,0]
	v_pk_add_f16 v29, v29, v30
	v_pk_add_f16 v30, v24, v26 op_sel:[0,1] op_sel_hi:[1,0]
	v_pk_add_f16 v24, v24, v26 op_sel:[0,1] op_sel_hi:[1,0] neg_lo:[0,1] neg_hi:[0,1]
	v_pk_add_f16 v23, v23, v17
	v_pk_add_f16 v26, v30, v28 op_sel:[0,1] op_sel_hi:[1,0]
	s_mov_b32 s5, 0xffff
	v_pk_add_f16 v24, v24, v28 op_sel:[0,1] op_sel_hi:[1,0] neg_lo:[0,1] neg_hi:[0,1]
	v_pk_add_f16 v23, v23, v19
	v_bfi_b32 v28, s5, v26, v24
	s_movk_i32 s2, 0x34f2
	v_lshl_add_u32 v5, v0, 4, v16
	v_pk_add_f16 v23, v23, v21
	v_pk_fma_f16 v28, v29, s2, v28 op_sel_hi:[1,0,1]
	s_barrier
	ds_write2_b32 v5, v23, v28 offset1:1
	v_pk_add_f16 v23, v14, v21
	v_pk_add_f16 v14, v17, v14 neg_lo:[0,1] neg_hi:[0,1]
	v_pk_add_f16 v17, v19, v21 neg_lo:[0,1] neg_hi:[0,1]
	v_pk_fma_f16 v12, v23, 0.5, v12 op_sel_hi:[1,0,1] neg_lo:[1,0,0] neg_hi:[1,0,0]
	v_pk_add_f16 v14, v14, v17
	v_pk_mul_f16 v17, v27, s3 op_sel_hi:[1,0]
	v_pk_mul_f16 v19, v25, s4 op_sel_hi:[1,0]
	v_pk_add_f16 v21, v12, v17 op_sel:[0,1] op_sel_hi:[1,0] neg_lo:[0,1] neg_hi:[0,1]
	v_pk_add_f16 v12, v12, v17 op_sel:[0,1] op_sel_hi:[1,0]
	v_pk_add_f16 v17, v21, v19 op_sel:[0,1] op_sel_hi:[1,0]
	v_pk_add_f16 v12, v12, v19 op_sel:[0,1] op_sel_hi:[1,0] neg_lo:[0,1] neg_hi:[0,1]
	v_bfi_b32 v19, s5, v17, v12
	v_bfi_b32 v12, s5, v12, v17
	v_pk_fma_f16 v19, v14, s2, v19 op_sel_hi:[1,0,1]
	v_pk_fma_f16 v12, v14, s2, v12 op_sel_hi:[1,0,1]
	ds_write2_b32 v5, v19, v12 offset0:2 offset1:3
	v_bfi_b32 v12, s5, v24, v26
	v_pk_fma_f16 v12, v29, s2, v12 op_sel_hi:[1,0,1]
	ds_write_b32 v5, v12 offset:16
	v_pk_add_f16 v5, v18, v20
	v_pk_add_f16 v12, v15, v22 neg_lo:[0,1] neg_hi:[0,1]
	v_pk_fma_f16 v5, v5, 0.5, v13 op_sel_hi:[1,0,1] neg_lo:[1,0,0] neg_hi:[1,0,0]
	v_pk_mul_f16 v14, v12, s3 op_sel_hi:[1,0]
	v_pk_add_f16 v17, v18, v20 neg_lo:[0,1] neg_hi:[0,1]
	v_pk_add_f16 v21, v15, v18 neg_lo:[0,1] neg_hi:[0,1]
	;; [unrolled: 1-line block ×3, first 2 shown]
	v_pk_add_f16 v8, v13, v15
	v_pk_mul_f16 v19, v17, s4 op_sel_hi:[1,0]
	v_pk_add_f16 v21, v21, v23
	v_pk_add_f16 v23, v5, v14 op_sel:[0,1] op_sel_hi:[1,0]
	v_pk_add_f16 v5, v5, v14 op_sel:[0,1] op_sel_hi:[1,0] neg_lo:[0,1] neg_hi:[0,1]
	v_pk_add_f16 v8, v8, v18
	v_pk_add_f16 v14, v23, v19 op_sel:[0,1] op_sel_hi:[1,0]
	v_pk_add_f16 v5, v5, v19 op_sel:[0,1] op_sel_hi:[1,0] neg_lo:[0,1] neg_hi:[0,1]
	v_pk_add_f16 v8, v8, v20
	v_bfi_b32 v19, s5, v14, v5
	v_mad_i32_i24 v1, v4, 20, 0
	v_pk_add_f16 v8, v8, v22
	v_pk_fma_f16 v19, v21, s2, v19 op_sel_hi:[1,0,1]
	ds_write2_b32 v1, v8, v19 offset1:1
	v_pk_add_f16 v8, v15, v22
	v_pk_fma_f16 v8, v8, 0.5, v13 op_sel_hi:[1,0,1] neg_lo:[1,0,0] neg_hi:[1,0,0]
	v_pk_add_f16 v13, v18, v15 neg_lo:[0,1] neg_hi:[0,1]
	v_pk_add_f16 v15, v20, v22 neg_lo:[0,1] neg_hi:[0,1]
	v_pk_add_f16 v13, v13, v15
	v_pk_mul_f16 v15, v17, s3 op_sel_hi:[1,0]
	v_pk_mul_f16 v12, v12, s4 op_sel_hi:[1,0]
	v_pk_add_f16 v17, v8, v15 op_sel:[0,1] op_sel_hi:[1,0] neg_lo:[0,1] neg_hi:[0,1]
	v_pk_add_f16 v8, v8, v15 op_sel:[0,1] op_sel_hi:[1,0]
	v_pk_add_f16 v15, v17, v12 op_sel:[0,1] op_sel_hi:[1,0]
	v_pk_add_f16 v8, v8, v12 op_sel:[0,1] op_sel_hi:[1,0] neg_lo:[0,1] neg_hi:[0,1]
	v_bfi_b32 v5, s5, v5, v14
	v_bfi_b32 v12, s5, v15, v8
	;; [unrolled: 1-line block ×3, first 2 shown]
	v_pk_fma_f16 v5, v21, s2, v5 op_sel_hi:[1,0,1]
	s_movk_i32 s5, 0xcd
	ds_write_b32 v1, v5 offset:16
	v_mul_lo_u16_sdwa v5, v0, s5 dst_sel:DWORD dst_unused:UNUSED_PAD src0_sel:BYTE_0 src1_sel:DWORD
	v_pk_fma_f16 v12, v13, s2, v12 op_sel_hi:[1,0,1]
	v_pk_fma_f16 v8, v13, s2, v8 op_sel_hi:[1,0,1]
	v_lshrrev_b16_e32 v13, 10, v5
	v_mul_lo_u16_e32 v5, 5, v13
	ds_write2_b32 v1, v12, v8 offset0:2 offset1:3
	v_sub_u16_e32 v14, v0, v5
	v_mov_b32_e32 v12, 9
	v_mul_u32_u24_sdwa v5, v14, v12 dst_sel:DWORD dst_unused:UNUSED_PAD src0_sel:BYTE_0 src1_sel:DWORD
	v_lshlrev_b32_e32 v5, 2, v5
	s_waitcnt lgkmcnt(0)
	s_barrier
	global_load_dwordx4 v[19:22], v5, s[8:9]
	global_load_dwordx4 v[23:26], v5, s[8:9] offset:16
	global_load_dword v15, v5, s[8:9] offset:32
	v_lshlrev_b32_e32 v5, 4, v4
	v_lshl_add_u32 v18, v7, 2, 0
	ds_read_b32 v33, v16
	ds_read_b32 v35, v18
	v_sub_u32_e32 v8, v1, v5
	v_lshl_add_u32 v17, v6, 2, 0
	ds_read2_b32 v[27:28], v10 offset0:4 offset1:154
	ds_read2_b32 v[29:30], v11 offset0:48 offset1:198
	ds_read_b32 v36, v8
	ds_read_b32 v37, v17
	ds_read2_b32 v[31:32], v9 offset0:88 offset1:238
	s_waitcnt lgkmcnt(4)
	v_lshrrev_b32_e32 v38, 16, v27
	v_lshrrev_b32_e32 v39, 16, v28
	s_waitcnt lgkmcnt(2)
	v_lshrrev_b32_e32 v42, 16, v36
	v_lshrrev_b32_e32 v40, 16, v29
	;; [unrolled: 1-line block ×3, first 2 shown]
	s_mov_b32 s6, 0xbb9c
	s_mov_b32 s5, 0xb8b4
	v_lshrrev_b32_e32 v34, 16, v33
	s_movk_i32 s7, 0x3a79
	s_waitcnt vmcnt(0) lgkmcnt(0)
	s_barrier
	v_cmp_gt_u32_e32 vcc, 50, v0
	v_mul_f16_sdwa v43, v19, v42 dst_sel:DWORD dst_unused:UNUSED_PAD src0_sel:WORD_1 src1_sel:DWORD
	v_fma_f16 v43, v19, v36, -v43
	v_mul_f16_sdwa v36, v19, v36 dst_sel:DWORD dst_unused:UNUSED_PAD src0_sel:WORD_1 src1_sel:DWORD
	v_fma_f16 v19, v19, v42, v36
	v_lshrrev_b32_e32 v36, 16, v35
	v_mul_f16_sdwa v42, v20, v36 dst_sel:DWORD dst_unused:UNUSED_PAD src0_sel:WORD_1 src1_sel:DWORD
	v_fma_f16 v42, v20, v35, -v42
	v_mul_f16_sdwa v35, v20, v35 dst_sel:DWORD dst_unused:UNUSED_PAD src0_sel:WORD_1 src1_sel:DWORD
	v_fma_f16 v20, v20, v36, v35
	v_lshrrev_b32_e32 v35, 16, v37
	;; [unrolled: 5-line block ×4, first 2 shown]
	v_mul_f16_sdwa v35, v23, v31 dst_sel:DWORD dst_unused:UNUSED_PAD src0_sel:WORD_1 src1_sel:DWORD
	v_fma_f16 v35, v23, v32, -v35
	v_mul_f16_sdwa v32, v23, v32 dst_sel:DWORD dst_unused:UNUSED_PAD src0_sel:WORD_1 src1_sel:DWORD
	v_fma_f16 v23, v23, v31, v32
	v_mul_f16_sdwa v31, v38, v24 dst_sel:DWORD dst_unused:UNUSED_PAD src0_sel:DWORD src1_sel:WORD_1
	v_fma_f16 v31, v27, v24, -v31
	v_mul_f16_sdwa v27, v27, v24 dst_sel:DWORD dst_unused:UNUSED_PAD src0_sel:DWORD src1_sel:WORD_1
	v_fma_f16 v24, v38, v24, v27
	v_mul_f16_sdwa v27, v39, v25 dst_sel:DWORD dst_unused:UNUSED_PAD src0_sel:DWORD src1_sel:WORD_1
	v_fma_f16 v27, v28, v25, -v27
	v_mul_f16_sdwa v28, v28, v25 dst_sel:DWORD dst_unused:UNUSED_PAD src0_sel:DWORD src1_sel:WORD_1
	;; [unrolled: 4-line block ×3, first 2 shown]
	v_fma_f16 v26, v40, v26, v29
	v_mul_f16_sdwa v29, v41, v15 dst_sel:DWORD dst_unused:UNUSED_PAD src0_sel:DWORD src1_sel:WORD_1
	v_add_f16_e32 v32, v37, v31
	v_fma_f16 v29, v30, v15, -v29
	v_mul_f16_sdwa v30, v30, v15 dst_sel:DWORD dst_unused:UNUSED_PAD src0_sel:DWORD src1_sel:WORD_1
	v_fma_f16 v32, v32, -0.5, v33
	v_sub_f16_e32 v38, v20, v26
	v_fma_f16 v15, v41, v15, v30
	v_fma_f16 v39, v38, s3, v32
	v_sub_f16_e32 v40, v22, v24
	v_sub_f16_e32 v41, v42, v37
	;; [unrolled: 1-line block ×3, first 2 shown]
	v_fma_f16 v32, v38, s6, v32
	v_fma_f16 v39, v40, s4, v39
	v_add_f16_e32 v41, v41, v44
	v_fma_f16 v32, v40, s5, v32
	v_add_f16_e32 v30, v33, v42
	v_fma_f16 v39, v41, s2, v39
	v_fma_f16 v32, v41, s2, v32
	v_add_f16_e32 v41, v42, v28
	v_add_f16_e32 v30, v30, v37
	v_fma_f16 v33, v41, -0.5, v33
	v_add_f16_e32 v30, v30, v31
	v_fma_f16 v41, v40, s6, v33
	v_fma_f16 v33, v40, s3, v33
	v_add_f16_e32 v40, v22, v24
	v_add_f16_e32 v30, v30, v28
	v_sub_f16_e32 v44, v37, v42
	v_sub_f16_e32 v45, v31, v28
	v_fma_f16 v40, v40, -0.5, v34
	v_sub_f16_e32 v28, v42, v28
	v_fma_f16 v41, v38, s4, v41
	v_add_f16_e32 v44, v44, v45
	v_fma_f16 v33, v38, s5, v33
	v_fma_f16 v42, v28, s6, v40
	v_sub_f16_e32 v31, v37, v31
	v_fma_f16 v41, v44, s2, v41
	v_fma_f16 v33, v44, s2, v33
	;; [unrolled: 1-line block ×3, first 2 shown]
	v_sub_f16_e32 v42, v20, v22
	v_sub_f16_e32 v44, v26, v24
	v_fma_f16 v40, v28, s3, v40
	v_add_f16_e32 v38, v34, v20
	v_add_f16_e32 v42, v42, v44
	v_fma_f16 v40, v31, s4, v40
	v_add_f16_e32 v38, v38, v22
	v_fma_f16 v37, v42, s2, v37
	v_fma_f16 v40, v42, s2, v40
	v_add_f16_e32 v42, v20, v26
	v_add_f16_e32 v38, v38, v24
	v_fma_f16 v34, v42, -0.5, v34
	v_add_f16_e32 v38, v38, v26
	v_fma_f16 v42, v31, s3, v34
	v_sub_f16_e32 v20, v22, v20
	v_sub_f16_e32 v22, v24, v26
	v_fma_f16 v24, v31, s6, v34
	v_add_f16_e32 v26, v35, v27
	v_fma_f16 v42, v28, s5, v42
	v_add_f16_e32 v20, v20, v22
	v_fma_f16 v24, v28, s4, v24
	v_fma_f16 v26, v26, -0.5, v43
	v_sub_f16_e32 v28, v21, v15
	v_fma_f16 v22, v20, s2, v42
	v_fma_f16 v31, v28, s3, v26
	v_sub_f16_e32 v34, v23, v25
	v_sub_f16_e32 v42, v36, v35
	;; [unrolled: 1-line block ×3, first 2 shown]
	v_fma_f16 v26, v28, s6, v26
	v_fma_f16 v31, v34, s4, v31
	v_add_f16_e32 v42, v42, v44
	v_fma_f16 v26, v34, s5, v26
	v_fma_f16 v20, v20, s2, v24
	v_add_f16_e32 v24, v43, v36
	;; [unrolled: 3-line block ×3, first 2 shown]
	v_add_f16_e32 v24, v24, v35
	v_fma_f16 v42, v42, -0.5, v43
	v_add_f16_e32 v24, v24, v27
	v_fma_f16 v43, v34, s6, v42
	v_fma_f16 v34, v34, s3, v42
	v_add_f16_e32 v42, v23, v25
	v_add_f16_e32 v24, v24, v29
	v_sub_f16_e32 v44, v35, v36
	v_sub_f16_e32 v45, v27, v29
	v_fma_f16 v42, v42, -0.5, v19
	v_sub_f16_e32 v29, v36, v29
	v_fma_f16 v43, v28, s4, v43
	v_add_f16_e32 v44, v44, v45
	v_fma_f16 v28, v28, s5, v34
	v_fma_f16 v36, v29, s6, v42
	v_sub_f16_e32 v27, v35, v27
	v_fma_f16 v43, v44, s2, v43
	v_fma_f16 v28, v44, s2, v28
	v_fma_f16 v35, v27, s5, v36
	v_sub_f16_e32 v36, v21, v23
	v_sub_f16_e32 v44, v15, v25
	v_fma_f16 v42, v29, s3, v42
	v_add_f16_e32 v34, v19, v21
	v_add_f16_e32 v36, v36, v44
	v_fma_f16 v42, v27, s4, v42
	v_add_f16_e32 v34, v34, v23
	v_fma_f16 v35, v36, s2, v35
	v_fma_f16 v36, v36, s2, v42
	v_add_f16_e32 v42, v21, v15
	v_add_f16_e32 v34, v34, v25
	v_fma_f16 v19, v42, -0.5, v19
	v_add_f16_e32 v34, v34, v15
	v_fma_f16 v42, v27, s3, v19
	v_sub_f16_e32 v21, v23, v21
	v_sub_f16_e32 v15, v25, v15
	v_fma_f16 v42, v29, s5, v42
	v_add_f16_e32 v15, v21, v15
	v_fma_f16 v21, v15, s2, v42
	v_fma_f16 v19, v27, s6, v19
	v_mul_f16_e32 v27, 0x3b9c, v21
	v_fma_f16 v19, v29, s4, v19
	v_mul_f16_e32 v23, 0x38b4, v35
	;; [unrolled: 2-line block ×3, first 2 shown]
	v_fma_f16 v15, v15, s2, v19
	v_fma_f16 v23, v31, s7, v23
	v_mul_f16_e32 v42, 0x34f2, v28
	v_mul_f16_e32 v31, 0xb8b4, v31
	v_fma_f16 v21, v21, s2, v43
	v_fma_f16 v42, v15, s3, -v42
	v_mul_f16_e32 v45, 0x3a79, v26
	v_fma_f16 v31, v35, s7, v31
	v_add_f16_e32 v43, v22, v21
	v_mul_f16_e32 v15, 0x34f2, v15
	v_sub_f16_e32 v21, v22, v21
	v_mul_u32_u24_e32 v22, 0xc8, v13
	v_mov_b32_e32 v13, 2
	v_add_f16_e32 v19, v30, v24
	v_add_f16_e32 v25, v39, v23
	v_fma_f16 v45, v36, s4, -v45
	v_add_f16_e32 v47, v38, v34
	v_add_f16_e32 v35, v37, v31
	v_fma_f16 v15, v28, s6, -v15
	v_mul_f16_e32 v36, 0x3a79, v36
	v_lshlrev_b32_sdwa v14, v13, v14 dst_sel:DWORD dst_unused:UNUSED_PAD src0_sel:DWORD src1_sel:BYTE_0
	v_add_f16_e32 v29, v41, v27
	v_add_f16_e32 v44, v33, v42
	;; [unrolled: 1-line block ×3, first 2 shown]
	v_fma_f16 v26, v26, s5, -v36
	v_add3_u32 v14, 0, v22, v14
	v_pack_b32_f16 v19, v19, v47
	v_pack_b32_f16 v22, v25, v35
	v_add_f16_e32 v46, v32, v45
	v_add_f16_e32 v36, v40, v26
	v_sub_f16_e32 v24, v30, v24
	v_sub_f16_e32 v30, v33, v42
	;; [unrolled: 1-line block ×3, first 2 shown]
	ds_write2_b32 v14, v19, v22 offset1:5
	v_pack_b32_f16 v19, v29, v43
	v_pack_b32_f16 v22, v44, v28
	v_sub_f16_e32 v23, v39, v23
	v_sub_f16_e32 v27, v41, v27
	;; [unrolled: 1-line block ×3, first 2 shown]
	ds_write2_b32 v14, v19, v22 offset0:10 offset1:15
	v_pack_b32_f16 v19, v46, v36
	v_pack_b32_f16 v22, v24, v33
	v_sub_f16_e32 v32, v32, v45
	v_sub_f16_e32 v15, v20, v15
	;; [unrolled: 1-line block ×3, first 2 shown]
	ds_write2_b32 v14, v19, v22 offset0:20 offset1:25
	v_pack_b32_f16 v19, v23, v31
	v_pack_b32_f16 v21, v27, v21
	ds_write2_b32 v14, v19, v21 offset0:30 offset1:35
	v_pack_b32_f16 v15, v30, v15
	v_pack_b32_f16 v19, v32, v20
	ds_write2_b32 v14, v15, v19 offset0:40 offset1:45
	v_mov_b32_e32 v14, 41
	v_mul_lo_u16_sdwa v14, v0, v14 dst_sel:DWORD dst_unused:UNUSED_PAD src0_sel:BYTE_0 src1_sel:DWORD
	v_lshrrev_b16_e32 v15, 11, v14
	v_mul_lo_u16_e32 v14, 50, v15
	v_sub_u16_e32 v14, v0, v14
	v_mul_u32_u24_sdwa v12, v14, v12 dst_sel:DWORD dst_unused:UNUSED_PAD src0_sel:BYTE_0 src1_sel:DWORD
	v_lshlrev_b32_e32 v12, 2, v12
	s_waitcnt lgkmcnt(0)
	s_barrier
	global_load_dwordx4 v[19:22], v12, s[8:9] offset:180
	global_load_dwordx4 v[23:26], v12, s[8:9] offset:196
	global_load_dword v31, v12, s[8:9] offset:212
	ds_read_b32 v12, v16
	ds_read_b32 v33, v18
	ds_read2_b32 v[27:28], v10 offset0:4 offset1:154
	ds_read2_b32 v[10:11], v11 offset0:48 offset1:198
	ds_read_b32 v34, v8
	ds_read_b32 v35, v17
	ds_read2_b32 v[29:30], v9 offset0:88 offset1:238
	s_waitcnt lgkmcnt(4)
	v_lshrrev_b32_e32 v9, 16, v27
	v_lshrrev_b32_e32 v36, 16, v28
	s_waitcnt lgkmcnt(2)
	v_lshrrev_b32_e32 v39, 16, v34
	v_lshrrev_b32_e32 v37, 16, v10
	;; [unrolled: 1-line block ×4, first 2 shown]
	v_lshlrev_b32_sdwa v13, v13, v14 dst_sel:DWORD dst_unused:UNUSED_PAD src0_sel:DWORD src1_sel:BYTE_0
	s_waitcnt vmcnt(0) lgkmcnt(0)
	s_barrier
	v_mul_f16_sdwa v40, v19, v39 dst_sel:DWORD dst_unused:UNUSED_PAD src0_sel:WORD_1 src1_sel:DWORD
	v_fma_f16 v40, v19, v34, -v40
	v_mul_f16_sdwa v34, v19, v34 dst_sel:DWORD dst_unused:UNUSED_PAD src0_sel:WORD_1 src1_sel:DWORD
	v_fma_f16 v19, v19, v39, v34
	v_lshrrev_b32_e32 v34, 16, v33
	v_mul_f16_sdwa v39, v20, v34 dst_sel:DWORD dst_unused:UNUSED_PAD src0_sel:WORD_1 src1_sel:DWORD
	v_fma_f16 v39, v20, v33, -v39
	v_mul_f16_sdwa v33, v20, v33 dst_sel:DWORD dst_unused:UNUSED_PAD src0_sel:WORD_1 src1_sel:DWORD
	v_fma_f16 v20, v20, v34, v33
	v_lshrrev_b32_e32 v33, 16, v35
	;; [unrolled: 5-line block ×4, first 2 shown]
	v_mul_f16_sdwa v33, v23, v29 dst_sel:DWORD dst_unused:UNUSED_PAD src0_sel:WORD_1 src1_sel:DWORD
	v_fma_f16 v33, v23, v30, -v33
	v_mul_f16_sdwa v30, v23, v30 dst_sel:DWORD dst_unused:UNUSED_PAD src0_sel:WORD_1 src1_sel:DWORD
	v_fma_f16 v23, v23, v29, v30
	v_mul_f16_sdwa v29, v9, v24 dst_sel:DWORD dst_unused:UNUSED_PAD src0_sel:DWORD src1_sel:WORD_1
	v_fma_f16 v29, v27, v24, -v29
	v_mul_f16_sdwa v27, v27, v24 dst_sel:DWORD dst_unused:UNUSED_PAD src0_sel:DWORD src1_sel:WORD_1
	v_fma_f16 v9, v9, v24, v27
	v_mul_f16_sdwa v24, v36, v25 dst_sel:DWORD dst_unused:UNUSED_PAD src0_sel:DWORD src1_sel:WORD_1
	v_mul_f16_sdwa v27, v28, v25 dst_sel:DWORD dst_unused:UNUSED_PAD src0_sel:DWORD src1_sel:WORD_1
	v_fma_f16 v24, v28, v25, -v24
	v_fma_f16 v25, v36, v25, v27
	v_mul_f16_sdwa v27, v37, v26 dst_sel:DWORD dst_unused:UNUSED_PAD src0_sel:DWORD src1_sel:WORD_1
	v_fma_f16 v27, v10, v26, -v27
	v_mul_f16_sdwa v10, v10, v26 dst_sel:DWORD dst_unused:UNUSED_PAD src0_sel:DWORD src1_sel:WORD_1
	v_fma_f16 v10, v37, v26, v10
	v_mul_f16_sdwa v26, v38, v31 dst_sel:DWORD dst_unused:UNUSED_PAD src0_sel:DWORD src1_sel:WORD_1
	v_fma_f16 v26, v11, v31, -v26
	v_mul_f16_sdwa v11, v11, v31 dst_sel:DWORD dst_unused:UNUSED_PAD src0_sel:DWORD src1_sel:WORD_1
	v_add_f16_e32 v30, v35, v29
	v_fma_f16 v11, v38, v31, v11
	v_fma_f16 v30, v30, -0.5, v12
	v_sub_f16_e32 v31, v20, v10
	v_fma_f16 v36, v31, s3, v30
	v_sub_f16_e32 v37, v22, v9
	v_sub_f16_e32 v38, v39, v35
	;; [unrolled: 1-line block ×3, first 2 shown]
	v_fma_f16 v30, v31, s6, v30
	v_fma_f16 v36, v37, s4, v36
	v_add_f16_e32 v38, v38, v41
	v_fma_f16 v30, v37, s5, v30
	v_add_f16_e32 v28, v12, v39
	v_fma_f16 v36, v38, s2, v36
	v_fma_f16 v30, v38, s2, v30
	v_add_f16_e32 v38, v39, v27
	v_add_f16_e32 v28, v28, v35
	v_fma_f16 v12, v38, -0.5, v12
	v_add_f16_e32 v28, v28, v29
	v_fma_f16 v38, v37, s6, v12
	v_fma_f16 v12, v37, s3, v12
	v_add_f16_e32 v37, v22, v9
	v_add_f16_e32 v28, v28, v27
	v_sub_f16_e32 v41, v35, v39
	v_sub_f16_e32 v42, v29, v27
	v_fma_f16 v37, v37, -0.5, v32
	v_sub_f16_e32 v27, v39, v27
	v_fma_f16 v38, v31, s4, v38
	v_add_f16_e32 v41, v41, v42
	v_fma_f16 v12, v31, s5, v12
	v_fma_f16 v39, v27, s6, v37
	v_sub_f16_e32 v29, v35, v29
	v_fma_f16 v38, v41, s2, v38
	v_fma_f16 v12, v41, s2, v12
	;; [unrolled: 1-line block ×3, first 2 shown]
	v_sub_f16_e32 v39, v20, v22
	v_sub_f16_e32 v41, v10, v9
	v_fma_f16 v37, v27, s3, v37
	v_add_f16_e32 v31, v32, v20
	v_add_f16_e32 v39, v39, v41
	v_fma_f16 v37, v29, s4, v37
	v_add_f16_e32 v31, v31, v22
	v_fma_f16 v35, v39, s2, v35
	v_fma_f16 v37, v39, s2, v37
	v_add_f16_e32 v39, v20, v10
	v_add_f16_e32 v31, v31, v9
	v_fma_f16 v32, v39, -0.5, v32
	v_sub_f16_e32 v20, v22, v20
	v_sub_f16_e32 v9, v9, v10
	v_fma_f16 v39, v29, s3, v32
	v_add_f16_e32 v9, v20, v9
	v_fma_f16 v20, v29, s6, v32
	v_add_f16_e32 v22, v33, v24
	v_fma_f16 v39, v27, s5, v39
	v_fma_f16 v20, v27, s4, v20
	v_fma_f16 v22, v22, -0.5, v40
	v_sub_f16_e32 v27, v21, v11
	v_add_f16_e32 v31, v31, v10
	v_fma_f16 v10, v9, s2, v39
	v_fma_f16 v29, v27, s3, v22
	v_sub_f16_e32 v32, v23, v25
	v_sub_f16_e32 v39, v34, v33
	v_sub_f16_e32 v41, v26, v24
	v_fma_f16 v22, v27, s6, v22
	v_fma_f16 v29, v32, s4, v29
	v_add_f16_e32 v39, v39, v41
	v_fma_f16 v22, v32, s5, v22
	v_fma_f16 v9, v9, s2, v20
	v_add_f16_e32 v20, v40, v34
	;; [unrolled: 3-line block ×3, first 2 shown]
	v_add_f16_e32 v20, v20, v33
	v_fma_f16 v39, v39, -0.5, v40
	v_add_f16_e32 v20, v20, v24
	v_fma_f16 v40, v32, s6, v39
	v_fma_f16 v32, v32, s3, v39
	v_add_f16_e32 v39, v23, v25
	v_add_f16_e32 v20, v20, v26
	v_sub_f16_e32 v41, v33, v34
	v_sub_f16_e32 v42, v24, v26
	v_fma_f16 v39, v39, -0.5, v19
	v_sub_f16_e32 v26, v34, v26
	v_fma_f16 v40, v27, s4, v40
	v_add_f16_e32 v41, v41, v42
	v_fma_f16 v27, v27, s5, v32
	v_fma_f16 v34, v26, s6, v39
	v_sub_f16_e32 v24, v33, v24
	v_fma_f16 v40, v41, s2, v40
	v_fma_f16 v27, v41, s2, v27
	;; [unrolled: 1-line block ×3, first 2 shown]
	v_sub_f16_e32 v34, v21, v23
	v_sub_f16_e32 v41, v11, v25
	v_fma_f16 v39, v26, s3, v39
	v_add_f16_e32 v32, v19, v21
	v_add_f16_e32 v34, v34, v41
	v_fma_f16 v39, v24, s4, v39
	v_add_f16_e32 v32, v32, v23
	v_fma_f16 v33, v34, s2, v33
	v_fma_f16 v34, v34, s2, v39
	v_add_f16_e32 v39, v21, v11
	v_add_f16_e32 v32, v32, v25
	v_fma_f16 v19, v39, -0.5, v19
	v_add_f16_e32 v32, v32, v11
	v_fma_f16 v39, v24, s3, v19
	v_sub_f16_e32 v21, v23, v21
	v_sub_f16_e32 v11, v25, v11
	v_fma_f16 v19, v24, s6, v19
	v_fma_f16 v39, v26, s5, v39
	v_add_f16_e32 v11, v21, v11
	v_fma_f16 v19, v26, s4, v19
	v_fma_f16 v21, v11, s2, v39
	;; [unrolled: 1-line block ×3, first 2 shown]
	v_mul_f16_e32 v19, 0x38b4, v33
	v_mul_f16_e32 v39, 0x34f2, v27
	v_fma_f16 v19, v29, s7, v19
	v_mul_f16_e32 v25, 0x3b9c, v21
	v_fma_f16 v39, v11, s3, -v39
	v_mul_f16_e32 v29, 0xb8b4, v29
	v_mul_f16_e32 v11, 0x34f2, v11
	v_fma_f16 v25, v40, s2, v25
	v_mul_f16_e32 v42, 0x3a79, v22
	v_fma_f16 v29, v33, s7, v29
	v_mul_f16_e32 v40, 0xbb9c, v40
	v_fma_f16 v11, v27, s6, -v11
	v_add_f16_e32 v23, v28, v20
	v_add_f16_e32 v24, v36, v19
	v_fma_f16 v42, v34, s4, -v42
	v_add_f16_e32 v44, v31, v32
	v_add_f16_e32 v33, v35, v29
	v_fma_f16 v21, v21, s2, v40
	v_add_f16_e32 v27, v9, v11
	v_mul_f16_e32 v34, 0x3a79, v34
	v_sub_f16_e32 v9, v9, v11
	v_mul_u32_u24_e32 v11, 0x7d0, v15
	v_add_f16_e32 v26, v38, v25
	v_add_f16_e32 v41, v12, v39
	;; [unrolled: 1-line block ×3, first 2 shown]
	v_fma_f16 v22, v22, s5, -v34
	v_add3_u32 v11, 0, v11, v13
	v_pack_b32_f16 v13, v23, v44
	v_pack_b32_f16 v14, v24, v33
	v_add_f16_e32 v43, v30, v42
	v_add_f16_e32 v34, v37, v22
	v_sub_f16_e32 v28, v28, v20
	v_sub_f16_e32 v36, v36, v19
	;; [unrolled: 1-line block ×4, first 2 shown]
	ds_write2_b32 v11, v13, v14 offset1:50
	v_pack_b32_f16 v13, v26, v40
	v_pack_b32_f16 v14, v41, v27
	v_sub_f16_e32 v25, v38, v25
	v_sub_f16_e32 v29, v35, v29
	;; [unrolled: 1-line block ×3, first 2 shown]
	ds_write2_b32 v11, v13, v14 offset0:100 offset1:150
	v_pack_b32_f16 v13, v43, v34
	v_pack_b32_f16 v14, v28, v30
	v_sub_f16_e32 v12, v12, v39
	v_sub_f16_e32 v20, v37, v22
	ds_write2_b32 v11, v13, v14 offset0:200 offset1:250
	v_pack_b32_f16 v13, v36, v29
	v_pack_b32_f16 v10, v25, v10
	v_add_u32_e32 v11, 0x400, v11
	ds_write2_b32 v11, v13, v10 offset0:44 offset1:94
	v_pack_b32_f16 v9, v12, v9
	v_pack_b32_f16 v10, v19, v20
	ds_write2_b32 v11, v9, v10 offset0:144 offset1:194
	v_add_u32_e32 v9, 0x700, v16
	s_waitcnt lgkmcnt(0)
	s_barrier
	ds_read2_b32 v[14:15], v9 offset0:52 offset1:202
	v_add_u32_e32 v9, 0xc00, v16
	ds_read2_b32 v[10:11], v9 offset0:32 offset1:232
	v_add_u32_e32 v9, 0x1100, v16
	ds_read2_b32 v[12:13], v9 offset0:62 offset1:212
	ds_read_b32 v27, v16
	ds_read_b32 v26, v8
	;; [unrolled: 1-line block ×3, first 2 shown]
	v_sub_u32_e32 v24, 0, v5
                                        ; implicit-def: $vgpr21
                                        ; implicit-def: $vgpr5
                                        ; implicit-def: $vgpr23
                                        ; implicit-def: $vgpr22
	s_and_saveexec_b64 s[2:3], vcc
	s_cbranch_execz .LBB0_15
; %bb.14:
	ds_read_b32 v19, v17
	ds_read_b32 v5, v16 offset:5800
	ds_read_b32 v22, v16 offset:3800
	s_waitcnt lgkmcnt(2)
	v_lshrrev_b32_e32 v20, 16, v19
	s_waitcnt lgkmcnt(1)
	v_lshrrev_b32_e32 v21, 16, v5
	;; [unrolled: 2-line block ×3, first 2 shown]
.LBB0_15:
	s_or_b64 exec, exec, s[2:3]
	v_lshlrev_b32_e32 v8, 1, v0
	v_mov_b32_e32 v9, 0
	v_lshlrev_b64 v[28:29], 2, v[8:9]
	v_lshlrev_b32_e32 v8, 1, v4
	v_mov_b32_e32 v34, s9
	v_add_co_u32_e64 v28, s[2:3], s8, v28
	v_lshlrev_b64 v[30:31], 2, v[8:9]
	v_addc_co_u32_e64 v29, s[2:3], v34, v29, s[2:3]
	v_lshlrev_b32_e32 v8, 1, v7
	v_add_co_u32_e64 v30, s[2:3], s8, v30
	v_lshlrev_b64 v[32:33], 2, v[8:9]
	global_load_dwordx2 v[28:29], v[28:29], off offset:1980
	v_addc_co_u32_e64 v31, s[2:3], v34, v31, s[2:3]
	global_load_dwordx2 v[30:31], v[30:31], off offset:1980
	v_add_co_u32_e64 v32, s[2:3], s8, v32
	v_addc_co_u32_e64 v33, s[2:3], v34, v33, s[2:3]
	global_load_dwordx2 v[32:33], v[32:33], off offset:1980
	s_waitcnt lgkmcnt(4)
	v_lshrrev_b32_e32 v40, 16, v11
	v_lshrrev_b32_e32 v41, 16, v14
	s_waitcnt lgkmcnt(3)
	v_lshrrev_b32_e32 v38, 16, v12
	s_waitcnt lgkmcnt(2)
	v_lshrrev_b32_e32 v8, 16, v27
	v_lshrrev_b32_e32 v39, 16, v15
	;; [unrolled: 1-line block ×4, first 2 shown]
	s_waitcnt lgkmcnt(1)
	v_lshrrev_b32_e32 v34, 16, v26
	s_movk_i32 s4, 0x3aee
	s_mov_b32 s5, 0xbaee
	s_waitcnt vmcnt(0) lgkmcnt(0)
	s_barrier
	v_lshrrev_b32_e32 v35, 16, v25
	v_mul_f16_sdwa v42, v28, v41 dst_sel:DWORD dst_unused:UNUSED_PAD src0_sel:WORD_1 src1_sel:DWORD
	v_mul_f16_sdwa v43, v28, v14 dst_sel:DWORD dst_unused:UNUSED_PAD src0_sel:WORD_1 src1_sel:DWORD
	;; [unrolled: 1-line block ×4, first 2 shown]
	v_fma_f16 v14, v28, v14, -v42
	v_fma_f16 v28, v28, v41, v43
	v_fma_f16 v11, v29, v11, -v44
	v_fma_f16 v29, v29, v40, v45
	v_mul_f16_sdwa v42, v31, v38 dst_sel:DWORD dst_unused:UNUSED_PAD src0_sel:WORD_1 src1_sel:DWORD
	v_mul_f16_sdwa v43, v31, v12 dst_sel:DWORD dst_unused:UNUSED_PAD src0_sel:WORD_1 src1_sel:DWORD
	;; [unrolled: 1-line block ×4, first 2 shown]
	v_fma_f16 v12, v31, v12, -v42
	v_fma_f16 v31, v31, v38, v43
	v_add_f16_e32 v42, v27, v14
	v_add_f16_e32 v43, v14, v11
	v_sub_f16_e32 v44, v28, v29
	v_add_f16_e32 v45, v8, v28
	v_add_f16_e32 v28, v28, v29
	v_fma_f16 v15, v30, v15, -v40
	v_fma_f16 v30, v30, v39, v41
	v_mul_f16_sdwa v38, v32, v37 dst_sel:DWORD dst_unused:UNUSED_PAD src0_sel:WORD_1 src1_sel:DWORD
	v_mul_f16_sdwa v39, v32, v10 dst_sel:DWORD dst_unused:UNUSED_PAD src0_sel:WORD_1 src1_sel:DWORD
	;; [unrolled: 1-line block ×4, first 2 shown]
	v_sub_f16_e32 v14, v14, v11
	v_add_f16_e32 v11, v42, v11
	v_fma_f16 v27, v43, -0.5, v27
	v_add_f16_e32 v29, v45, v29
	v_fma_f16 v8, v28, -0.5, v8
	v_fma_f16 v10, v32, v10, -v38
	v_fma_f16 v32, v32, v37, v39
	v_fma_f16 v13, v33, v13, -v40
	v_fma_f16 v33, v33, v36, v41
	v_add_f16_e32 v28, v26, v15
	v_add_f16_e32 v36, v15, v12
	v_sub_f16_e32 v37, v30, v31
	v_add_f16_e32 v38, v34, v30
	v_add_f16_e32 v30, v30, v31
	v_fma_f16 v39, v44, s4, v27
	v_fma_f16 v40, v14, s5, v8
	v_pack_b32_f16 v11, v11, v29
	v_sub_f16_e32 v15, v15, v12
	v_fma_f16 v27, v44, s5, v27
	v_fma_f16 v8, v14, s4, v8
	v_add_f16_e32 v12, v28, v12
	v_fma_f16 v14, v36, -0.5, v26
	v_add_f16_e32 v26, v38, v31
	v_fma_f16 v28, v30, -0.5, v34
	v_add_f16_e32 v30, v25, v10
	v_add_f16_e32 v31, v10, v13
	ds_write_b32 v16, v11
	v_pack_b32_f16 v11, v39, v40
	v_fma_f16 v34, v37, s4, v14
	v_fma_f16 v36, v15, s5, v28
	;; [unrolled: 1-line block ×3, first 2 shown]
	v_add_f16_e32 v28, v30, v13
	v_fma_f16 v25, v31, -0.5, v25
	v_sub_f16_e32 v30, v32, v33
	ds_write_b32 v16, v11 offset:2000
	v_pack_b32_f16 v8, v27, v8
	v_add_u32_e32 v11, v1, v24
	v_pack_b32_f16 v1, v12, v26
	v_fma_f16 v14, v37, s5, v14
	v_fma_f16 v31, v30, s4, v25
	;; [unrolled: 1-line block ×3, first 2 shown]
	v_add_f16_e32 v30, v35, v32
	v_add_f16_e32 v32, v32, v33
	ds_write_b32 v16, v8 offset:4000
	ds_write_b32 v11, v1
	v_pack_b32_f16 v1, v34, v36
	v_add_f16_e32 v30, v30, v33
	v_fma_f16 v32, v32, -0.5, v35
	v_sub_f16_e32 v10, v10, v13
	ds_write_b32 v11, v1 offset:2000
	v_pack_b32_f16 v1, v14, v15
	v_fma_f16 v13, v10, s5, v32
	ds_write_b32 v11, v1 offset:4000
	v_pack_b32_f16 v1, v28, v30
	v_fma_f16 v10, v10, s4, v32
	ds_write_b32 v18, v1
	v_pack_b32_f16 v1, v31, v13
	ds_write_b32 v18, v1 offset:2000
	v_pack_b32_f16 v1, v25, v10
	ds_write_b32 v18, v1 offset:4000
	s_and_saveexec_b64 s[2:3], vcc
	s_cbranch_execz .LBB0_17
; %bb.16:
	v_subrev_u32_e32 v1, 50, v0
	v_cndmask_b32_e32 v1, v1, v6, vcc
	v_lshlrev_b32_e32 v8, 1, v1
	v_lshlrev_b64 v[8:9], 2, v[8:9]
	v_mov_b32_e32 v1, s9
	v_add_co_u32_e32 v8, vcc, s8, v8
	v_addc_co_u32_e32 v9, vcc, v1, v9, vcc
	global_load_dwordx2 v[8:9], v[8:9], off offset:1980
	s_waitcnt vmcnt(0)
	v_mul_f16_sdwa v1, v23, v8 dst_sel:DWORD dst_unused:UNUSED_PAD src0_sel:DWORD src1_sel:WORD_1
	v_mul_f16_sdwa v10, v21, v9 dst_sel:DWORD dst_unused:UNUSED_PAD src0_sel:DWORD src1_sel:WORD_1
	;; [unrolled: 1-line block ×4, first 2 shown]
	v_fma_f16 v1, v22, v8, -v1
	v_fma_f16 v5, v5, v9, -v10
	v_fma_f16 v8, v23, v8, v12
	v_fma_f16 v9, v21, v9, v13
	v_sub_f16_e32 v10, v1, v5
	v_add_f16_e32 v12, v8, v9
	v_add_f16_e32 v13, v20, v8
	;; [unrolled: 1-line block ×4, first 2 shown]
	v_sub_f16_e32 v8, v8, v9
	v_fma_f16 v12, v12, -0.5, v20
	v_add_f16_e32 v9, v13, v9
	v_fma_f16 v13, v14, -0.5, v19
	v_add_f16_e32 v1, v1, v5
	v_fma_f16 v5, v10, s4, v12
	v_fma_f16 v10, v10, s5, v12
	;; [unrolled: 1-line block ×4, first 2 shown]
	v_pack_b32_f16 v1, v1, v9
	ds_write_b32 v16, v1 offset:1800
	v_pack_b32_f16 v1, v8, v10
	v_pack_b32_f16 v5, v12, v5
	ds_write_b32 v16, v1 offset:3800
	ds_write_b32 v16, v5 offset:5800
.LBB0_17:
	s_or_b64 exec, exec, s[2:3]
	s_waitcnt lgkmcnt(0)
	s_barrier
	ds_read_b32 v5, v16
	s_add_u32 s4, s8, 0x175c
	v_lshlrev_b32_e32 v1, 2, v0
	s_addc_u32 s5, s9, 0
	v_sub_u32_e32 v12, 0, v1
	v_cmp_ne_u32_e32 vcc, 0, v0
                                        ; implicit-def: $vgpr15
                                        ; implicit-def: $vgpr13
                                        ; implicit-def: $vgpr14
                                        ; implicit-def: $vgpr9_vgpr10
	s_and_saveexec_b64 s[2:3], vcc
	s_xor_b64 s[2:3], exec, s[2:3]
	s_cbranch_execz .LBB0_19
; %bb.18:
	v_mov_b32_e32 v1, 0
	v_lshlrev_b64 v[8:9], 2, v[0:1]
	v_mov_b32_e32 v10, s5
	v_add_co_u32_e32 v8, vcc, s4, v8
	v_addc_co_u32_e32 v9, vcc, v10, v9, vcc
	global_load_dword v8, v[8:9], off
	ds_read_b32 v9, v12 offset:6000
	s_mov_b32 s6, 0xffff
	s_waitcnt lgkmcnt(0)
	v_pk_add_f16 v10, v5, v9 neg_lo:[0,1] neg_hi:[0,1]
	v_pk_add_f16 v5, v9, v5
	v_bfi_b32 v9, s6, v10, v5
	v_bfi_b32 v5, s6, v5, v10
	v_pk_mul_f16 v9, v9, 0.5 op_sel_hi:[1,0]
	v_pk_mul_f16 v10, v5, 0.5 op_sel_hi:[1,0]
	s_waitcnt vmcnt(0)
	v_pk_mul_f16 v13, v8, v9 op_sel:[1,0]
	v_pk_mul_f16 v8, v8, v9 op_sel_hi:[0,1]
	v_pk_fma_f16 v5, v5, 0.5, v13 op_sel_hi:[1,0,1]
	v_sub_f16_e32 v9, v10, v13
	v_sub_f16_sdwa v10, v13, v10 dst_sel:DWORD dst_unused:UNUSED_PAD src0_sel:WORD_1 src1_sel:WORD_1
	v_pk_add_f16 v15, v5, v8 op_sel:[0,1] op_sel_hi:[1,0]
	v_pk_add_f16 v5, v5, v8 op_sel:[0,1] op_sel_hi:[1,0] neg_lo:[0,1] neg_hi:[0,1]
	v_sub_f16_sdwa v13, v9, v8 dst_sel:DWORD dst_unused:UNUSED_PAD src0_sel:DWORD src1_sel:WORD_1
	v_sub_f16_e32 v14, v10, v8
	v_mov_b32_e32 v10, v1
	v_bfi_b32 v15, s6, v15, v5
	v_mov_b32_e32 v9, v0
                                        ; implicit-def: $vgpr5
.LBB0_19:
	s_andn2_saveexec_b64 s[2:3], s[2:3]
	s_cbranch_execz .LBB0_21
; %bb.20:
	v_mov_b32_e32 v14, 0
	ds_read_u16 v1, v14 offset:3002
	s_waitcnt lgkmcnt(1)
	v_alignbit_b32 v8, s0, v5, 16
	v_sub_f16_sdwa v13, v5, v5 dst_sel:DWORD dst_unused:UNUSED_PAD src0_sel:DWORD src1_sel:WORD_1
	v_mov_b32_e32 v9, 0
	v_pk_add_f16 v5, v8, v5
	v_mov_b32_e32 v10, 0
	s_waitcnt lgkmcnt(0)
	v_xor_b32_e32 v1, 0x8000, v1
	v_pack_b32_f16 v15, v5, 0
	ds_write_b16 v14, v1 offset:3002
.LBB0_21:
	s_or_b64 exec, exec, s[2:3]
	s_waitcnt lgkmcnt(0)
	v_mov_b32_e32 v5, 0
	v_lshlrev_b64 v[19:20], 2, v[4:5]
	v_mov_b32_e32 v1, s5
	v_add_co_u32_e32 v19, vcc, s4, v19
	v_addc_co_u32_e32 v20, vcc, v1, v20, vcc
	global_load_dword v1, v[19:20], off
	v_mov_b32_e32 v8, v5
	v_lshlrev_b64 v[7:8], 2, v[7:8]
	v_mov_b32_e32 v4, s5
	v_add_co_u32_e32 v7, vcc, s4, v7
	v_addc_co_u32_e32 v8, vcc, v4, v8, vcc
	global_load_dword v8, v[7:8], off
	;; [unrolled: 6-line block ×3, first 2 shown]
	v_lshlrev_b64 v[4:5], 2, v[9:10]
	v_mov_b32_e32 v7, s5
	v_add_co_u32_e32 v6, vcc, s4, v4
	ds_write_b16 v12, v14 offset:6002
	ds_write_b32 v16, v15
	ds_write_b16 v12, v13 offset:6000
	v_addc_co_u32_e32 v7, vcc, v7, v5, vcc
	ds_read_b32 v9, v11
	ds_read_b32 v10, v12 offset:5400
	global_load_dword v6, v[6:7], off offset:2400
	s_mov_b32 s2, 0xffff
	s_waitcnt lgkmcnt(0)
	v_pk_add_f16 v7, v9, v10 neg_lo:[0,1] neg_hi:[0,1]
	v_pk_add_f16 v9, v9, v10
	v_bfi_b32 v10, s2, v7, v9
	v_bfi_b32 v7, s2, v9, v7
	v_pk_mul_f16 v9, v10, 0.5 op_sel_hi:[1,0]
	v_pk_mul_f16 v7, v7, 0.5 op_sel_hi:[1,0]
	s_waitcnt vmcnt(3)
	v_pk_fma_f16 v10, v1, v9, v7 op_sel:[1,0,0]
	v_pk_mul_f16 v13, v1, v9 op_sel_hi:[0,1]
	v_pk_fma_f16 v14, v1, v9, v7 op_sel:[1,0,0] neg_lo:[1,0,0] neg_hi:[1,0,0]
	v_pk_fma_f16 v1, v1, v9, v7 op_sel:[1,0,0] neg_lo:[0,0,1] neg_hi:[0,0,1]
	v_pk_add_f16 v7, v10, v13 op_sel:[0,1] op_sel_hi:[1,0]
	v_pk_add_f16 v9, v10, v13 op_sel:[0,1] op_sel_hi:[1,0] neg_lo:[0,1] neg_hi:[0,1]
	v_pk_add_f16 v10, v14, v13 op_sel:[0,1] op_sel_hi:[1,0] neg_lo:[0,1] neg_hi:[0,1]
	;; [unrolled: 1-line block ×3, first 2 shown]
	v_bfi_b32 v7, s2, v7, v9
	v_bfi_b32 v1, s2, v10, v1
	ds_write_b32 v11, v7
	ds_write_b32 v12, v1 offset:5400
	ds_read_b32 v1, v18
	ds_read_b32 v7, v12 offset:4800
	s_waitcnt lgkmcnt(0)
	v_pk_add_f16 v9, v1, v7 neg_lo:[0,1] neg_hi:[0,1]
	v_pk_add_f16 v1, v1, v7
	v_bfi_b32 v7, s2, v9, v1
	v_bfi_b32 v1, s2, v1, v9
	v_pk_mul_f16 v7, v7, 0.5 op_sel_hi:[1,0]
	v_pk_mul_f16 v1, v1, 0.5 op_sel_hi:[1,0]
	s_waitcnt vmcnt(2)
	v_pk_fma_f16 v9, v8, v7, v1 op_sel:[1,0,0]
	v_pk_mul_f16 v10, v8, v7 op_sel_hi:[0,1]
	v_pk_fma_f16 v11, v8, v7, v1 op_sel:[1,0,0] neg_lo:[1,0,0] neg_hi:[1,0,0]
	v_pk_fma_f16 v1, v8, v7, v1 op_sel:[1,0,0] neg_lo:[0,0,1] neg_hi:[0,0,1]
	v_pk_add_f16 v7, v9, v10 op_sel:[0,1] op_sel_hi:[1,0]
	v_pk_add_f16 v8, v9, v10 op_sel:[0,1] op_sel_hi:[1,0] neg_lo:[0,1] neg_hi:[0,1]
	v_pk_add_f16 v9, v11, v10 op_sel:[0,1] op_sel_hi:[1,0] neg_lo:[0,1] neg_hi:[0,1]
	;; [unrolled: 1-line block ×3, first 2 shown]
	v_bfi_b32 v7, s2, v7, v8
	v_bfi_b32 v1, s2, v9, v1
	ds_write_b32 v18, v7
	ds_write_b32 v12, v1 offset:4800
	ds_read_b32 v1, v17
	ds_read_b32 v7, v12 offset:4200
	s_waitcnt lgkmcnt(0)
	v_pk_add_f16 v8, v1, v7 neg_lo:[0,1] neg_hi:[0,1]
	v_pk_add_f16 v1, v1, v7
	v_bfi_b32 v7, s2, v8, v1
	v_bfi_b32 v1, s2, v1, v8
	v_pk_mul_f16 v7, v7, 0.5 op_sel_hi:[1,0]
	v_pk_mul_f16 v1, v1, 0.5 op_sel_hi:[1,0]
	s_waitcnt vmcnt(1)
	v_pk_fma_f16 v8, v19, v7, v1 op_sel:[1,0,0]
	v_pk_mul_f16 v9, v19, v7 op_sel_hi:[0,1]
	v_pk_fma_f16 v10, v19, v7, v1 op_sel:[1,0,0] neg_lo:[1,0,0] neg_hi:[1,0,0]
	v_pk_fma_f16 v1, v19, v7, v1 op_sel:[1,0,0] neg_lo:[0,0,1] neg_hi:[0,0,1]
	v_pk_add_f16 v7, v8, v9 op_sel:[0,1] op_sel_hi:[1,0]
	v_pk_add_f16 v8, v8, v9 op_sel:[0,1] op_sel_hi:[1,0] neg_lo:[0,1] neg_hi:[0,1]
	v_pk_add_f16 v10, v10, v9 op_sel:[0,1] op_sel_hi:[1,0] neg_lo:[0,1] neg_hi:[0,1]
	;; [unrolled: 1-line block ×3, first 2 shown]
	v_bfi_b32 v7, s2, v7, v8
	v_bfi_b32 v1, s2, v10, v1
	ds_write_b32 v17, v7
	ds_write_b32 v12, v1 offset:4200
	ds_read_b32 v1, v16 offset:2400
	ds_read_b32 v7, v12 offset:3600
	s_waitcnt lgkmcnt(0)
	v_pk_add_f16 v8, v1, v7 neg_lo:[0,1] neg_hi:[0,1]
	v_pk_add_f16 v1, v1, v7
	v_bfi_b32 v7, s2, v8, v1
	v_bfi_b32 v1, s2, v1, v8
	v_pk_mul_f16 v7, v7, 0.5 op_sel_hi:[1,0]
	v_pk_mul_f16 v1, v1, 0.5 op_sel_hi:[1,0]
	s_waitcnt vmcnt(0)
	v_pk_fma_f16 v8, v6, v7, v1 op_sel:[1,0,0]
	v_pk_mul_f16 v9, v6, v7 op_sel_hi:[0,1]
	v_pk_fma_f16 v10, v6, v7, v1 op_sel:[1,0,0] neg_lo:[1,0,0] neg_hi:[1,0,0]
	v_pk_fma_f16 v1, v6, v7, v1 op_sel:[1,0,0] neg_lo:[0,0,1] neg_hi:[0,0,1]
	v_pk_add_f16 v6, v8, v9 op_sel:[0,1] op_sel_hi:[1,0]
	v_pk_add_f16 v7, v8, v9 op_sel:[0,1] op_sel_hi:[1,0] neg_lo:[0,1] neg_hi:[0,1]
	v_pk_add_f16 v8, v10, v9 op_sel:[0,1] op_sel_hi:[1,0] neg_lo:[0,1] neg_hi:[0,1]
	;; [unrolled: 1-line block ×3, first 2 shown]
	v_bfi_b32 v6, s2, v6, v7
	v_bfi_b32 v1, s2, v8, v1
	ds_write_b32 v16, v6 offset:2400
	ds_write_b32 v12, v1 offset:3600
	s_waitcnt lgkmcnt(0)
	s_barrier
	s_and_saveexec_b64 s[2:3], s[0:1]
	s_cbranch_execz .LBB0_24
; %bb.22:
	ds_read2_b32 v[6:7], v16 offset1:150
	v_mov_b32_e32 v1, s13
	v_add_co_u32_e32 v2, vcc, s12, v2
	v_addc_co_u32_e32 v1, vcc, v1, v3, vcc
	v_add_co_u32_e32 v3, vcc, v2, v4
	v_addc_co_u32_e32 v4, vcc, v1, v5, vcc
	s_waitcnt lgkmcnt(0)
	global_store_dword v[3:4], v6, off
	global_store_dword v[3:4], v7, off offset:600
	v_add_u32_e32 v5, 0x400, v16
	ds_read2_b32 v[5:6], v5 offset0:44 offset1:194
	v_add_u32_e32 v7, 0x800, v16
	ds_read2_b32 v[7:8], v7 offset0:88 offset1:238
	;; [unrolled: 2-line block ×3, first 2 shown]
	s_waitcnt lgkmcnt(2)
	global_store_dword v[3:4], v5, off offset:1200
	global_store_dword v[3:4], v6, off offset:1800
	s_waitcnt lgkmcnt(1)
	global_store_dword v[3:4], v7, off offset:2400
	global_store_dword v[3:4], v8, off offset:3000
	s_waitcnt lgkmcnt(0)
	global_store_dword v[3:4], v9, off offset:3600
	v_add_u32_e32 v5, 0x1200, v16
	ds_read2_b32 v[5:6], v5 offset0:48 offset1:198
	v_add_co_u32_e32 v3, vcc, 0x1000, v3
	v_addc_co_u32_e32 v4, vcc, 0, v4, vcc
	s_movk_i32 s0, 0x95
	v_cmp_eq_u32_e32 vcc, s0, v0
	global_store_dword v[3:4], v10, off offset:104
	s_waitcnt lgkmcnt(0)
	global_store_dword v[3:4], v5, off offset:704
	global_store_dword v[3:4], v6, off offset:1304
	s_and_b64 exec, exec, vcc
	s_cbranch_execz .LBB0_24
; %bb.23:
	v_mov_b32_e32 v0, 0
	ds_read_b32 v3, v0 offset:6000
	v_add_co_u32_e32 v0, vcc, 0x1000, v2
	v_addc_co_u32_e32 v1, vcc, 0, v1, vcc
	s_waitcnt lgkmcnt(0)
	global_store_dword v[0:1], v3, off offset:1904
.LBB0_24:
	s_endpgm
	.section	.rodata,"a",@progbits
	.p2align	6, 0x0
	.amdhsa_kernel fft_rtc_fwd_len1500_factors_5_10_10_3_wgs_150_tpt_150_halfLds_half_ip_CI_unitstride_sbrr_R2C_dirReg
		.amdhsa_group_segment_fixed_size 0
		.amdhsa_private_segment_fixed_size 0
		.amdhsa_kernarg_size 88
		.amdhsa_user_sgpr_count 6
		.amdhsa_user_sgpr_private_segment_buffer 1
		.amdhsa_user_sgpr_dispatch_ptr 0
		.amdhsa_user_sgpr_queue_ptr 0
		.amdhsa_user_sgpr_kernarg_segment_ptr 1
		.amdhsa_user_sgpr_dispatch_id 0
		.amdhsa_user_sgpr_flat_scratch_init 0
		.amdhsa_user_sgpr_private_segment_size 0
		.amdhsa_uses_dynamic_stack 0
		.amdhsa_system_sgpr_private_segment_wavefront_offset 0
		.amdhsa_system_sgpr_workgroup_id_x 1
		.amdhsa_system_sgpr_workgroup_id_y 0
		.amdhsa_system_sgpr_workgroup_id_z 0
		.amdhsa_system_sgpr_workgroup_info 0
		.amdhsa_system_vgpr_workitem_id 0
		.amdhsa_next_free_vgpr 48
		.amdhsa_next_free_sgpr 22
		.amdhsa_reserve_vcc 1
		.amdhsa_reserve_flat_scratch 0
		.amdhsa_float_round_mode_32 0
		.amdhsa_float_round_mode_16_64 0
		.amdhsa_float_denorm_mode_32 3
		.amdhsa_float_denorm_mode_16_64 3
		.amdhsa_dx10_clamp 1
		.amdhsa_ieee_mode 1
		.amdhsa_fp16_overflow 0
		.amdhsa_exception_fp_ieee_invalid_op 0
		.amdhsa_exception_fp_denorm_src 0
		.amdhsa_exception_fp_ieee_div_zero 0
		.amdhsa_exception_fp_ieee_overflow 0
		.amdhsa_exception_fp_ieee_underflow 0
		.amdhsa_exception_fp_ieee_inexact 0
		.amdhsa_exception_int_div_zero 0
	.end_amdhsa_kernel
	.text
.Lfunc_end0:
	.size	fft_rtc_fwd_len1500_factors_5_10_10_3_wgs_150_tpt_150_halfLds_half_ip_CI_unitstride_sbrr_R2C_dirReg, .Lfunc_end0-fft_rtc_fwd_len1500_factors_5_10_10_3_wgs_150_tpt_150_halfLds_half_ip_CI_unitstride_sbrr_R2C_dirReg
                                        ; -- End function
	.section	.AMDGPU.csdata,"",@progbits
; Kernel info:
; codeLenInByte = 7812
; NumSgprs: 26
; NumVgprs: 48
; ScratchSize: 0
; MemoryBound: 0
; FloatMode: 240
; IeeeMode: 1
; LDSByteSize: 0 bytes/workgroup (compile time only)
; SGPRBlocks: 3
; VGPRBlocks: 11
; NumSGPRsForWavesPerEU: 26
; NumVGPRsForWavesPerEU: 48
; Occupancy: 5
; WaveLimiterHint : 1
; COMPUTE_PGM_RSRC2:SCRATCH_EN: 0
; COMPUTE_PGM_RSRC2:USER_SGPR: 6
; COMPUTE_PGM_RSRC2:TRAP_HANDLER: 0
; COMPUTE_PGM_RSRC2:TGID_X_EN: 1
; COMPUTE_PGM_RSRC2:TGID_Y_EN: 0
; COMPUTE_PGM_RSRC2:TGID_Z_EN: 0
; COMPUTE_PGM_RSRC2:TIDIG_COMP_CNT: 0
	.type	__hip_cuid_e0675e4fd2e83121,@object ; @__hip_cuid_e0675e4fd2e83121
	.section	.bss,"aw",@nobits
	.globl	__hip_cuid_e0675e4fd2e83121
__hip_cuid_e0675e4fd2e83121:
	.byte	0                               ; 0x0
	.size	__hip_cuid_e0675e4fd2e83121, 1

	.ident	"AMD clang version 19.0.0git (https://github.com/RadeonOpenCompute/llvm-project roc-6.4.0 25133 c7fe45cf4b819c5991fe208aaa96edf142730f1d)"
	.section	".note.GNU-stack","",@progbits
	.addrsig
	.addrsig_sym __hip_cuid_e0675e4fd2e83121
	.amdgpu_metadata
---
amdhsa.kernels:
  - .args:
      - .actual_access:  read_only
        .address_space:  global
        .offset:         0
        .size:           8
        .value_kind:     global_buffer
      - .offset:         8
        .size:           8
        .value_kind:     by_value
      - .actual_access:  read_only
        .address_space:  global
        .offset:         16
        .size:           8
        .value_kind:     global_buffer
      - .actual_access:  read_only
        .address_space:  global
        .offset:         24
        .size:           8
        .value_kind:     global_buffer
      - .offset:         32
        .size:           8
        .value_kind:     by_value
      - .actual_access:  read_only
        .address_space:  global
        .offset:         40
        .size:           8
        .value_kind:     global_buffer
      - .actual_access:  read_only
        .address_space:  global
        .offset:         48
        .size:           8
        .value_kind:     global_buffer
      - .offset:         56
        .size:           4
        .value_kind:     by_value
      - .actual_access:  read_only
        .address_space:  global
        .offset:         64
        .size:           8
        .value_kind:     global_buffer
      - .actual_access:  read_only
        .address_space:  global
        .offset:         72
        .size:           8
        .value_kind:     global_buffer
      - .address_space:  global
        .offset:         80
        .size:           8
        .value_kind:     global_buffer
    .group_segment_fixed_size: 0
    .kernarg_segment_align: 8
    .kernarg_segment_size: 88
    .language:       OpenCL C
    .language_version:
      - 2
      - 0
    .max_flat_workgroup_size: 150
    .name:           fft_rtc_fwd_len1500_factors_5_10_10_3_wgs_150_tpt_150_halfLds_half_ip_CI_unitstride_sbrr_R2C_dirReg
    .private_segment_fixed_size: 0
    .sgpr_count:     26
    .sgpr_spill_count: 0
    .symbol:         fft_rtc_fwd_len1500_factors_5_10_10_3_wgs_150_tpt_150_halfLds_half_ip_CI_unitstride_sbrr_R2C_dirReg.kd
    .uniform_work_group_size: 1
    .uses_dynamic_stack: false
    .vgpr_count:     48
    .vgpr_spill_count: 0
    .wavefront_size: 64
amdhsa.target:   amdgcn-amd-amdhsa--gfx906
amdhsa.version:
  - 1
  - 2
...

	.end_amdgpu_metadata
